;; amdgpu-corpus repo=ROCm/aiter kind=harvested arch=n/a opt=n/a

/root/src/amdgpu-assembly/repos/ROCm__aiter/hsa/gfx950/fmha_v3_bwd/bwd_hd64_odo_fp16.co:	file format elf64-amdgpu

Disassembly of section .text:

0000000000002400 <_ZN5aiter22fmha_bwd_hd64_odo_fp16E>:
	s_and_b32 s1, s1, 0xffff                                   // 000000002400: 8601FF01 0000FFFF
	s_load_dwordx2 s[12:13], s[0:1], 0x0                       // 000000002408: C0060300 00000000
	s_load_dwordx2 s[20:21], s[0:1], 0x10                      // 000000002410: C0060500 00000010
	s_load_dwordx2 s[16:17], s[0:1], 0x20                      // 000000002418: C0060400 00000020
	s_load_dword s6, s[0:1], 0x30                              // 000000002420: C0020180 00000030
	s_load_dword s8, s[0:1], 0x50                              // 000000002428: C0020200 00000050
	s_load_dword s50, s[0:1], 0x60                             // 000000002430: C0020C80 00000060
	s_load_dword s52, s[0:1], 0x80                             // 000000002438: C0020D00 00000080
	s_load_dword s9, s[0:1], 0x90                              // 000000002440: C0020240 00000090
	s_load_dword s11, s[0:1], 0xb0                             // 000000002448: C00202C0 000000B0
	s_load_dword s37, s[0:1], 0xd0                             // 000000002450: C0020940 000000D0
	s_load_dword s7, s[0:1], 0x40                              // 000000002458: C00201C0 00000040
	s_load_dword s51, s[0:1], 0x70                             // 000000002460: C0020CC0 00000070
	s_load_dword s10, s[0:1], 0xa0                             // 000000002468: C0020280 000000A0
	s_load_dword s39, s[0:1], 0xc0                             // 000000002470: C00209C0 000000C0
	v_lshrrev_b32_e32 v1, 10, v0                               // 000000002478: 2002008A
	v_lshrrev_b32_e32 v2, 10, v1                               // 00000000247C: 2004028A
	v_and_b32_e32 v2, 0x3ff, v2                                // 000000002480: 260404FF 000003FF
	v_and_b32_e32 v1, 0x3ff, v1                                // 000000002488: 260202FF 000003FF
	v_and_b32_e32 v0, 0x3ff, v0                                // 000000002490: 260000FF 000003FF
	v_lshrrev_b32_e32 v3, 6, v0                                // 000000002498: 20060086
	v_and_b32_e32 v0, 63, v0                                   // 00000000249C: 260000BF
	s_mov_b32 s2, s2                                           // 0000000024A0: BE820002
	s_mov_b32 s3, s3                                           // 0000000024A4: BE830003
	s_mov_b32 s4, s4                                           // 0000000024A8: BE840004
	v_readfirstlane_b32 s30, v3                                // 0000000024AC: 7E3C0503
	s_waitcnt lgkmcnt(0)                                       // 0000000024B0: BF8CC07F
	s_mov_b32 s15, 0x20000                                     // 0000000024B4: BE8F00FF 00020000
	s_mov_b32 s19, 0x20000                                     // 0000000024BC: BE9300FF 00020000
	s_mov_b32 s23, 0x20000                                     // 0000000024C4: BE9700FF 00020000
	s_and_b32 s13, s13, 0xffff                                 // 0000000024CC: 860DFF0D 0000FFFF
	s_and_b32 s17, s17, 0xffff                                 // 0000000024D4: 8611FF11 0000FFFF
	s_and_b32 s21, s21, 0xffff                                 // 0000000024DC: 8615FF15 0000FFFF
	s_or_b32 s13, s13, 0x40000                                 // 0000000024E4: 870DFF0D 00040000
	s_or_b32 s17, s17, 0x40000                                 // 0000000024EC: 8711FF11 00040000
	s_or_b32 s21, s21, 0x40000                                 // 0000000024F4: 8715FF15 00040000
	v_mov_b32_e32 v31, 0                                       // 0000000024FC: 7E3E0280
	s_mov_b32 s24, s12                                         // 000000002500: BE98000C
	s_mov_b32 s25, s13                                         // 000000002504: BE99000D
	s_mov_b32 s26, s16                                         // 000000002508: BE9A0010
	s_mov_b32 s27, s17                                         // 00000000250C: BE9B0011
	s_mov_b32 s28, s20                                         // 000000002510: BE9C0014
	s_mov_b32 s29, s21                                         // 000000002514: BE9D0015
	s_mul_i32 s31, s8, 0x80                                    // 000000002518: 921FFF08 00000080
	s_mul_i32 s31, s2, s31                                     // 000000002520: 921F1F02
	s_mul_i32 s32, s3, s6                                      // 000000002524: 92200603
	s_mul_i32 s33, s4, s7                                      // 000000002528: 92210704
	s_mul_hi_u32 s35, s4, s7                                   // 00000000252C: 96230704
	s_add_u32 s34, s31, s32                                    // 000000002530: 8022201F
	s_add_u32 s34, s34, s33                                    // 000000002534: 80222122
	s_addc_u32 s35, s35, 0                                     // 000000002538: 82238023
	s_mul_i32 s32, s39, s8                                     // 00000000253C: 92200827
	s_sub_i32 s32, s32, s31                                    // 000000002540: 81A01F20
	s_mov_b32 s14, s32                                         // 000000002544: BE8E0020
	s_add_u32 s12, s34, s24                                    // 000000002548: 800C1822
	s_addc_u32 s13, s35, s25                                   // 00000000254C: 820D1923
	s_mul_i32 s31, s52, 0x80                                   // 000000002550: 921FFF34 00000080
	s_mul_i32 s31, s2, s31                                     // 000000002558: 921F1F02
	s_mul_i32 s32, s3, s50                                     // 00000000255C: 92203203
	s_mul_i32 s33, s4, s51                                     // 000000002560: 92213304
	s_mul_hi_u32 s35, s4, s51                                  // 000000002564: 96233304
	s_add_u32 s53, s31, s32                                    // 000000002568: 8035201F
	s_add_u32 s53, s53, s33                                    // 00000000256C: 80352135
	s_addc_u32 s35, s35, 0                                     // 000000002570: 82238023
	s_mul_i32 s32, s39, s52                                    // 000000002574: 92203427
	s_sub_i32 s32, s32, s31                                    // 000000002578: 81A01F20
	s_mov_b32 s22, s32                                         // 00000000257C: BE960020
	s_add_u32 s20, s53, s28                                    // 000000002580: 80141C35
	s_addc_u32 s21, s35, s29                                   // 000000002584: 82151D23
	s_mul_i32 s31, s11, 0x80                                   // 000000002588: 921FFF0B 00000080
	s_mul_i32 s31, s2, s31                                     // 000000002590: 921F1F02
	s_mul_i32 s32, s3, s9                                      // 000000002594: 92200903
	s_add_u32 s35, s31, s32                                    // 000000002598: 8023201F
	s_mul_i32 s32, s39, s11                                    // 00000000259C: 92200B27
	s_sub_i32 s32, s32, s31                                    // 0000000025A0: 81A01F20
	s_mov_b32 s18, s32                                         // 0000000025A4: BE920020
	s_add_u32 s16, s35, s26                                    // 0000000025A8: 80101A23
	s_addc_u32 s17, 0, s27                                     // 0000000025AC: 82111B80
	s_mul_i32 s31, s4, s10                                     // 0000000025B0: 921F0A04
	s_mul_hi_u32 s32, s4, s10                                  // 0000000025B4: 96200A04
	s_and_b32 s32, s32, 0xffff                                 // 0000000025B8: 8620FF20 0000FFFF
	s_add_u32 s16, s16, s31                                    // 0000000025C0: 80101F10
	s_addc_u32 s17, s17, s32                                   // 0000000025C4: 82112011
	v_readfirstlane_b32 s30, v3                                // 0000000025C8: 7E3C0503
	v_lshrrev_b32_e32 v20, 3, v0                               // 0000000025CC: 20280083
	v_mul_i32_i24_e32 v20, s8, v20                             // 0000000025D0: 0C282808
	v_and_b32_e32 v21, 7, v0                                   // 0000000025D4: 262A0087
	v_mul_i32_i24_e32 v21, 16, v21                             // 0000000025D8: 0C2A2A90
	v_add_u32_e32 v21, v20, v21                                // 0000000025DC: 682A2B14
	v_mov_b32_e32 v4, v21                                      // 0000000025E0: 7E080315
	s_mul_i32 s31, 32, s8                                      // 0000000025E4: 921F08A0
	s_mul_i32 s31, s30, s31                                    // 0000000025E8: 921F1F1E
	v_add_u32_e32 v4, s31, v4                                  // 0000000025EC: 6808081F
	v_lshrrev_b32_e32 v20, 3, v0                               // 0000000025F0: 20280083
	v_mul_i32_i24_e32 v20, s52, v20                            // 0000000025F4: 0C282834
	v_and_b32_e32 v21, 7, v0                                   // 0000000025F8: 262A0087
	v_mul_i32_i24_e32 v21, 16, v21                             // 0000000025FC: 0C2A2A90
	v_add_u32_e32 v21, v20, v21                                // 000000002600: 682A2B14
	v_mov_b32_e32 v29, v21                                     // 000000002604: 7E3A0315
	s_mul_i32 s31, 32, s52                                     // 000000002608: 921F34A0
	s_mul_i32 s31, s30, s31                                    // 00000000260C: 921F1F1E
	v_add_u32_e32 v29, s31, v29                                // 000000002610: 683A3A1F
	v_lshrrev_b32_e32 v5, 3, v0                                // 000000002614: 200A0083
	v_mul_i32_i24_e32 v5, s11, v5                              // 000000002618: 0C0A0A0B
	v_and_b32_e32 v20, 7, v0                                   // 00000000261C: 26280087
	v_lshrrev_b32_e32 v20, 1, v20                              // 000000002620: 20282881
	v_lshlrev_b32_e32 v20, 5, v20                              // 000000002624: 24282885
	v_add_u32_e32 v5, v5, v20                                  // 000000002628: 680A2905
	s_mul_i32 s31, 32, s11                                     // 00000000262C: 921F0BA0
	s_mul_i32 s31, s30, s31                                    // 000000002630: 921F1F1E
	v_add_u32_e32 v5, s31, v5                                  // 000000002634: 680A0A1F
	v_and_b32_e32 v20, 7, v0                                   // 000000002638: 26280087
	v_lshlrev_b32_e32 v20, 3, v20                              // 00000000263C: 24282883
	s_sub_i32 s31, s37, 0                                      // 000000002640: 819F8025
	v_cmp_lt_u32_e64 s[36:37], v20, s31                        // 000000002644: D0C90024 00003F14
	v_and_b32_e32 v20, 1, v0                                   // 00000000264C: 26280081
	v_cmp_eq_u32_e64 s[38:39], v20, 0                          // 000000002650: D0CA0026 00010114
	v_lshlrev_b32_e32 v16, 2, v0                               // 000000002658: 24200082
	s_lshl_b32 s31, s30, 8                                     // 00000000265C: 8E1F881E
	v_add_u32_e32 v16, s31, v16                                // 000000002660: 6820201F
	v_lshrrev_b32_e32 v18, 3, v0                               // 000000002664: 20240083
	v_mul_i32_i24_e32 v18, 32, v18                             // 000000002668: 0C2424A0
	v_add_u32_e32 v18, s31, v18                                // 00000000266C: 6824241F
	v_add_u32_e32 v19, 16, v18                                 // 000000002670: 68262490
	v_mov_b32_e32 v14, 0                                       // 000000002674: 7E1C0280
	s_mul_i32 s31, s8, 0                                       // 000000002678: 921F8008
	s_lshl_b32 s31, s31, 3                                     // 00000000267C: 8E1F831F
	v_add_u32_e32 v15, s31, v4                                 // 000000002680: 681E081F
	s_mul_i32 s31, s52, 0                                      // 000000002684: 921F8034
	s_lshl_b32 s31, s31, 3                                     // 000000002688: 8E1F831F
	v_add_u32_e32 v30, s31, v29                                // 00000000268C: 683C3A1F
	v_and_b32_e32 v28, 7, v0                                   // 000000002690: 26380087
	v_cmp_eq_u32_e64 s[48:49], v28, 0                          // 000000002694: D0CA0030 0001011C
	v_mov_b32_e32 v10, 0                                       // 00000000269C: 7E140280
	v_mov_b32_e32 v6, 0                                        // 0000000026A0: 7E0C0280
	v_mov_b32_e32 v11, 0                                       // 0000000026A4: 7E160280
	v_mov_b32_e32 v7, 0                                        // 0000000026A8: 7E0E0280
	v_mov_b32_e32 v12, 0                                       // 0000000026AC: 7E180280
	v_mov_b32_e32 v8, 0                                        // 0000000026B0: 7E100280
	v_mov_b32_e32 v13, 0                                       // 0000000026B4: 7E1A0280
	v_mov_b32_e32 v9, 0                                        // 0000000026B8: 7E120280
	s_mov_b64 exec, s[36:37]                                   // 0000000026BC: BEFE0124
	buffer_load_dwordx4 v[10:13], v30, s[20:23], 0 offen       // 0000000026C0: E05C1000 80050A1E
	buffer_load_dwordx4 v[6:9], v15, s[12:15], 0 offen         // 0000000026C8: E05C1000 8003060F
	s_mov_b64 exec, -1                                         // 0000000026D0: BEFE01C1
	v_add_u32_e32 v15, 0x80, v15                               // 0000000026D4: 681E1EFF 00000080
	v_add_u32_e32 v30, 0x80, v30                               // 0000000026DC: 683C3CFF 00000080
	s_waitcnt vmcnt(0) expcnt(0) lgkmcnt(0)                    // 0000000026E4: BF8C0000
	s_barrier                                                  // 0000000026E8: BF8A0000
	v_mov_b32_e32 v24, 0                                       // 0000000026EC: 7E300280
	v_and_b32_e32 v20, 0xffff, v6                              // 0000000026F0: 26280CFF 0000FFFF
	v_lshrrev_b32_e32 v21, 16, v6                              // 0000000026F8: 202A0C90
	v_and_b32_e32 v22, 0xffff, v10                             // 0000000026FC: 262C14FF 0000FFFF
	v_lshrrev_b32_e32 v23, 16, v10                             // 000000002704: 202E1490
	v_cvt_f32_f16_e32 v20, v20                                 // 000000002708: 7E281714
	v_cvt_f32_f16_e32 v22, v22                                 // 00000000270C: 7E2C1716
	v_cvt_f32_f16_e32 v21, v21                                 // 000000002710: 7E2A1715
	v_cvt_f32_f16_e32 v23, v23                                 // 000000002714: 7E2E1717
	v_fma_f32 v24, v20, v22, v24                               // 000000002718: D1CB0018 04622D14
	v_fma_f32 v24, v21, v23, v24                               // 000000002720: D1CB0018 04622F15
	v_and_b32_e32 v20, 0xffff, v7                              // 000000002728: 26280EFF 0000FFFF
	v_lshrrev_b32_e32 v21, 16, v7                              // 000000002730: 202A0E90
	v_and_b32_e32 v22, 0xffff, v11                             // 000000002734: 262C16FF 0000FFFF
	v_lshrrev_b32_e32 v23, 16, v11                             // 00000000273C: 202E1690
	v_cvt_f32_f16_e32 v20, v20                                 // 000000002740: 7E281714
	v_cvt_f32_f16_e32 v22, v22                                 // 000000002744: 7E2C1716
	v_cvt_f32_f16_e32 v21, v21                                 // 000000002748: 7E2A1715
	v_cvt_f32_f16_e32 v23, v23                                 // 00000000274C: 7E2E1717
	v_fma_f32 v24, v20, v22, v24                               // 000000002750: D1CB0018 04622D14
	v_fma_f32 v24, v21, v23, v24                               // 000000002758: D1CB0018 04622F15
	v_and_b32_e32 v20, 0xffff, v8                              // 000000002760: 262810FF 0000FFFF
	v_lshrrev_b32_e32 v21, 16, v8                              // 000000002768: 202A1090
	v_and_b32_e32 v22, 0xffff, v12                             // 00000000276C: 262C18FF 0000FFFF
	v_lshrrev_b32_e32 v23, 16, v12                             // 000000002774: 202E1890
	v_cvt_f32_f16_e32 v20, v20                                 // 000000002778: 7E281714
	v_cvt_f32_f16_e32 v22, v22                                 // 00000000277C: 7E2C1716
	v_cvt_f32_f16_e32 v21, v21                                 // 000000002780: 7E2A1715
	v_cvt_f32_f16_e32 v23, v23                                 // 000000002784: 7E2E1717
	v_fma_f32 v24, v20, v22, v24                               // 000000002788: D1CB0018 04622D14
	v_fma_f32 v24, v21, v23, v24                               // 000000002790: D1CB0018 04622F15
	v_and_b32_e32 v20, 0xffff, v9                              // 000000002798: 262812FF 0000FFFF
	v_lshrrev_b32_e32 v21, 16, v9                              // 0000000027A0: 202A1290
	v_and_b32_e32 v22, 0xffff, v13                             // 0000000027A4: 262C1AFF 0000FFFF
	v_lshrrev_b32_e32 v23, 16, v13                             // 0000000027AC: 202E1A90
	v_cvt_f32_f16_e32 v20, v20                                 // 0000000027B0: 7E281714
	v_cvt_f32_f16_e32 v22, v22                                 // 0000000027B4: 7E2C1716
	v_cvt_f32_f16_e32 v21, v21                                 // 0000000027B8: 7E2A1715
	v_cvt_f32_f16_e32 v23, v23                                 // 0000000027BC: 7E2E1717
	v_fma_f32 v24, v20, v22, v24                               // 0000000027C0: D1CB0018 04622D14
	v_fma_f32 v24, v21, v23, v24                               // 0000000027C8: D1CB0018 04622F15
	ds_write_b32 v16, v24                                      // 0000000027D0: D81A0000 00001810
	s_waitcnt lgkmcnt(0)                                       // 0000000027D8: BF8CC07F
	s_mov_b64 exec, s[48:49]                                   // 0000000027DC: BEFE0130
	ds_read_b128 v[20:23], v18                                 // 0000000027E0: D9FE0000 14000012
	s_waitcnt lgkmcnt(0)                                       // 0000000027E8: BF8CC07F
	ds_read_b128 v[24:27], v19                                 // 0000000027EC: D9FE0000 18000013
	s_waitcnt lgkmcnt(0)                                       // 0000000027F4: BF8CC07F
	v_add_f32_e32 v14, v20, v14                                // 0000000027F8: 021C1D14
	v_add_f32_e32 v14, v21, v14                                // 0000000027FC: 021C1D15
	v_add_f32_e32 v14, v22, v14                                // 000000002800: 021C1D16
	v_add_f32_e32 v14, v23, v14                                // 000000002804: 021C1D17
	v_add_f32_e32 v14, v24, v14                                // 000000002808: 021C1D18
	v_add_f32_e32 v14, v25, v14                                // 00000000280C: 021C1D19
	v_add_f32_e32 v14, v26, v14                                // 000000002810: 021C1D1A
	v_add_f32_e32 v14, v27, v14                                // 000000002814: 021C1D1B
	s_mov_b64 exec, -1                                         // 000000002818: BEFE01C1
	s_mul_i32 s31, s8, 1                                       // 00000000281C: 921F8108
	s_lshl_b32 s31, s31, 3                                     // 000000002820: 8E1F831F
	v_add_u32_e32 v15, s31, v4                                 // 000000002824: 681E081F
	s_mul_i32 s31, s52, 1                                      // 000000002828: 921F8134
	s_lshl_b32 s31, s31, 3                                     // 00000000282C: 8E1F831F
	v_add_u32_e32 v30, s31, v29                                // 000000002830: 683C3A1F
	v_and_b32_e32 v28, 7, v0                                   // 000000002834: 26380087
	v_cmp_eq_u32_e64 s[48:49], v28, 2                          // 000000002838: D0CA0030 0001051C
	v_mov_b32_e32 v10, 0                                       // 000000002840: 7E140280
	v_mov_b32_e32 v6, 0                                        // 000000002844: 7E0C0280
	v_mov_b32_e32 v11, 0                                       // 000000002848: 7E160280
	v_mov_b32_e32 v7, 0                                        // 00000000284C: 7E0E0280
	v_mov_b32_e32 v12, 0                                       // 000000002850: 7E180280
	v_mov_b32_e32 v8, 0                                        // 000000002854: 7E100280
	v_mov_b32_e32 v13, 0                                       // 000000002858: 7E1A0280
	v_mov_b32_e32 v9, 0                                        // 00000000285C: 7E120280
	s_mov_b64 exec, s[36:37]                                   // 000000002860: BEFE0124
	buffer_load_dwordx4 v[10:13], v30, s[20:23], 0 offen       // 000000002864: E05C1000 80050A1E
	buffer_load_dwordx4 v[6:9], v15, s[12:15], 0 offen         // 00000000286C: E05C1000 8003060F
	s_mov_b64 exec, -1                                         // 000000002874: BEFE01C1
	v_add_u32_e32 v15, 0x80, v15                               // 000000002878: 681E1EFF 00000080
	v_add_u32_e32 v30, 0x80, v30                               // 000000002880: 683C3CFF 00000080
	s_waitcnt vmcnt(0) expcnt(0) lgkmcnt(0)                    // 000000002888: BF8C0000
	s_barrier                                                  // 00000000288C: BF8A0000
	v_mov_b32_e32 v24, 0                                       // 000000002890: 7E300280
	v_and_b32_e32 v20, 0xffff, v6                              // 000000002894: 26280CFF 0000FFFF
	v_lshrrev_b32_e32 v21, 16, v6                              // 00000000289C: 202A0C90
	v_and_b32_e32 v22, 0xffff, v10                             // 0000000028A0: 262C14FF 0000FFFF
	v_lshrrev_b32_e32 v23, 16, v10                             // 0000000028A8: 202E1490
	v_cvt_f32_f16_e32 v20, v20                                 // 0000000028AC: 7E281714
	v_cvt_f32_f16_e32 v22, v22                                 // 0000000028B0: 7E2C1716
	v_cvt_f32_f16_e32 v21, v21                                 // 0000000028B4: 7E2A1715
	v_cvt_f32_f16_e32 v23, v23                                 // 0000000028B8: 7E2E1717
	v_fma_f32 v24, v20, v22, v24                               // 0000000028BC: D1CB0018 04622D14
	v_fma_f32 v24, v21, v23, v24                               // 0000000028C4: D1CB0018 04622F15
	v_and_b32_e32 v20, 0xffff, v7                              // 0000000028CC: 26280EFF 0000FFFF
	v_lshrrev_b32_e32 v21, 16, v7                              // 0000000028D4: 202A0E90
	v_and_b32_e32 v22, 0xffff, v11                             // 0000000028D8: 262C16FF 0000FFFF
	v_lshrrev_b32_e32 v23, 16, v11                             // 0000000028E0: 202E1690
	v_cvt_f32_f16_e32 v20, v20                                 // 0000000028E4: 7E281714
	v_cvt_f32_f16_e32 v22, v22                                 // 0000000028E8: 7E2C1716
	v_cvt_f32_f16_e32 v21, v21                                 // 0000000028EC: 7E2A1715
	v_cvt_f32_f16_e32 v23, v23                                 // 0000000028F0: 7E2E1717
	v_fma_f32 v24, v20, v22, v24                               // 0000000028F4: D1CB0018 04622D14
	v_fma_f32 v24, v21, v23, v24                               // 0000000028FC: D1CB0018 04622F15
	v_and_b32_e32 v20, 0xffff, v8                              // 000000002904: 262810FF 0000FFFF
	v_lshrrev_b32_e32 v21, 16, v8                              // 00000000290C: 202A1090
	v_and_b32_e32 v22, 0xffff, v12                             // 000000002910: 262C18FF 0000FFFF
	v_lshrrev_b32_e32 v23, 16, v12                             // 000000002918: 202E1890
	v_cvt_f32_f16_e32 v20, v20                                 // 00000000291C: 7E281714
	v_cvt_f32_f16_e32 v22, v22                                 // 000000002920: 7E2C1716
	v_cvt_f32_f16_e32 v21, v21                                 // 000000002924: 7E2A1715
	v_cvt_f32_f16_e32 v23, v23                                 // 000000002928: 7E2E1717
	v_fma_f32 v24, v20, v22, v24                               // 00000000292C: D1CB0018 04622D14
	v_fma_f32 v24, v21, v23, v24                               // 000000002934: D1CB0018 04622F15
	v_and_b32_e32 v20, 0xffff, v9                              // 00000000293C: 262812FF 0000FFFF
	v_lshrrev_b32_e32 v21, 16, v9                              // 000000002944: 202A1290
	v_and_b32_e32 v22, 0xffff, v13                             // 000000002948: 262C1AFF 0000FFFF
	v_lshrrev_b32_e32 v23, 16, v13                             // 000000002950: 202E1A90
	v_cvt_f32_f16_e32 v20, v20                                 // 000000002954: 7E281714
	v_cvt_f32_f16_e32 v22, v22                                 // 000000002958: 7E2C1716
	v_cvt_f32_f16_e32 v21, v21                                 // 00000000295C: 7E2A1715
	v_cvt_f32_f16_e32 v23, v23                                 // 000000002960: 7E2E1717
	v_fma_f32 v24, v20, v22, v24                               // 000000002964: D1CB0018 04622D14
	v_fma_f32 v24, v21, v23, v24                               // 00000000296C: D1CB0018 04622F15
	ds_write_b32 v16, v24                                      // 000000002974: D81A0000 00001810
	s_waitcnt lgkmcnt(0)                                       // 00000000297C: BF8CC07F
	s_mov_b64 exec, s[48:49]                                   // 000000002980: BEFE0130
	ds_read_b128 v[20:23], v18                                 // 000000002984: D9FE0000 14000012
	s_waitcnt lgkmcnt(0)                                       // 00000000298C: BF8CC07F
	ds_read_b128 v[24:27], v19                                 // 000000002990: D9FE0000 18000013
	s_waitcnt lgkmcnt(0)                                       // 000000002998: BF8CC07F
	v_add_f32_e32 v14, v20, v14                                // 00000000299C: 021C1D14
	v_add_f32_e32 v14, v21, v14                                // 0000000029A0: 021C1D15
	v_add_f32_e32 v14, v22, v14                                // 0000000029A4: 021C1D16
	v_add_f32_e32 v14, v23, v14                                // 0000000029A8: 021C1D17
	v_add_f32_e32 v14, v24, v14                                // 0000000029AC: 021C1D18
	v_add_f32_e32 v14, v25, v14                                // 0000000029B0: 021C1D19
	v_add_f32_e32 v14, v26, v14                                // 0000000029B4: 021C1D1A
	v_add_f32_e32 v14, v27, v14                                // 0000000029B8: 021C1D1B
	s_mov_b64 exec, -1                                         // 0000000029BC: BEFE01C1
	s_mul_i32 s31, s8, 2                                       // 0000000029C0: 921F8208
	s_lshl_b32 s31, s31, 3                                     // 0000000029C4: 8E1F831F
	v_add_u32_e32 v15, s31, v4                                 // 0000000029C8: 681E081F
	s_mul_i32 s31, s52, 2                                      // 0000000029CC: 921F8234
	s_lshl_b32 s31, s31, 3                                     // 0000000029D0: 8E1F831F
	v_add_u32_e32 v30, s31, v29                                // 0000000029D4: 683C3A1F
	v_and_b32_e32 v28, 7, v0                                   // 0000000029D8: 26380087
	v_cmp_eq_u32_e64 s[48:49], v28, 4                          // 0000000029DC: D0CA0030 0001091C
	v_mov_b32_e32 v10, 0                                       // 0000000029E4: 7E140280
	v_mov_b32_e32 v6, 0                                        // 0000000029E8: 7E0C0280
	v_mov_b32_e32 v11, 0                                       // 0000000029EC: 7E160280
	v_mov_b32_e32 v7, 0                                        // 0000000029F0: 7E0E0280
	v_mov_b32_e32 v12, 0                                       // 0000000029F4: 7E180280
	v_mov_b32_e32 v8, 0                                        // 0000000029F8: 7E100280
	v_mov_b32_e32 v13, 0                                       // 0000000029FC: 7E1A0280
	v_mov_b32_e32 v9, 0                                        // 000000002A00: 7E120280
	s_mov_b64 exec, s[36:37]                                   // 000000002A04: BEFE0124
	buffer_load_dwordx4 v[10:13], v30, s[20:23], 0 offen       // 000000002A08: E05C1000 80050A1E
	buffer_load_dwordx4 v[6:9], v15, s[12:15], 0 offen         // 000000002A10: E05C1000 8003060F
	s_mov_b64 exec, -1                                         // 000000002A18: BEFE01C1
	v_add_u32_e32 v15, 0x80, v15                               // 000000002A1C: 681E1EFF 00000080
	v_add_u32_e32 v30, 0x80, v30                               // 000000002A24: 683C3CFF 00000080
	s_waitcnt vmcnt(0) expcnt(0) lgkmcnt(0)                    // 000000002A2C: BF8C0000
	s_barrier                                                  // 000000002A30: BF8A0000
	v_mov_b32_e32 v24, 0                                       // 000000002A34: 7E300280
	v_and_b32_e32 v20, 0xffff, v6                              // 000000002A38: 26280CFF 0000FFFF
	v_lshrrev_b32_e32 v21, 16, v6                              // 000000002A40: 202A0C90
	v_and_b32_e32 v22, 0xffff, v10                             // 000000002A44: 262C14FF 0000FFFF
	v_lshrrev_b32_e32 v23, 16, v10                             // 000000002A4C: 202E1490
	v_cvt_f32_f16_e32 v20, v20                                 // 000000002A50: 7E281714
	v_cvt_f32_f16_e32 v22, v22                                 // 000000002A54: 7E2C1716
	v_cvt_f32_f16_e32 v21, v21                                 // 000000002A58: 7E2A1715
	v_cvt_f32_f16_e32 v23, v23                                 // 000000002A5C: 7E2E1717
	v_fma_f32 v24, v20, v22, v24                               // 000000002A60: D1CB0018 04622D14
	v_fma_f32 v24, v21, v23, v24                               // 000000002A68: D1CB0018 04622F15
	v_and_b32_e32 v20, 0xffff, v7                              // 000000002A70: 26280EFF 0000FFFF
	v_lshrrev_b32_e32 v21, 16, v7                              // 000000002A78: 202A0E90
	v_and_b32_e32 v22, 0xffff, v11                             // 000000002A7C: 262C16FF 0000FFFF
	v_lshrrev_b32_e32 v23, 16, v11                             // 000000002A84: 202E1690
	v_cvt_f32_f16_e32 v20, v20                                 // 000000002A88: 7E281714
	v_cvt_f32_f16_e32 v22, v22                                 // 000000002A8C: 7E2C1716
	v_cvt_f32_f16_e32 v21, v21                                 // 000000002A90: 7E2A1715
	v_cvt_f32_f16_e32 v23, v23                                 // 000000002A94: 7E2E1717
	v_fma_f32 v24, v20, v22, v24                               // 000000002A98: D1CB0018 04622D14
	v_fma_f32 v24, v21, v23, v24                               // 000000002AA0: D1CB0018 04622F15
	v_and_b32_e32 v20, 0xffff, v8                              // 000000002AA8: 262810FF 0000FFFF
	v_lshrrev_b32_e32 v21, 16, v8                              // 000000002AB0: 202A1090
	v_and_b32_e32 v22, 0xffff, v12                             // 000000002AB4: 262C18FF 0000FFFF
	v_lshrrev_b32_e32 v23, 16, v12                             // 000000002ABC: 202E1890
	v_cvt_f32_f16_e32 v20, v20                                 // 000000002AC0: 7E281714
	v_cvt_f32_f16_e32 v22, v22                                 // 000000002AC4: 7E2C1716
	v_cvt_f32_f16_e32 v21, v21                                 // 000000002AC8: 7E2A1715
	v_cvt_f32_f16_e32 v23, v23                                 // 000000002ACC: 7E2E1717
	v_fma_f32 v24, v20, v22, v24                               // 000000002AD0: D1CB0018 04622D14
	v_fma_f32 v24, v21, v23, v24                               // 000000002AD8: D1CB0018 04622F15
	v_and_b32_e32 v20, 0xffff, v9                              // 000000002AE0: 262812FF 0000FFFF
	v_lshrrev_b32_e32 v21, 16, v9                              // 000000002AE8: 202A1290
	v_and_b32_e32 v22, 0xffff, v13                             // 000000002AEC: 262C1AFF 0000FFFF
	v_lshrrev_b32_e32 v23, 16, v13                             // 000000002AF4: 202E1A90
	v_cvt_f32_f16_e32 v20, v20                                 // 000000002AF8: 7E281714
	v_cvt_f32_f16_e32 v22, v22                                 // 000000002AFC: 7E2C1716
	v_cvt_f32_f16_e32 v21, v21                                 // 000000002B00: 7E2A1715
	v_cvt_f32_f16_e32 v23, v23                                 // 000000002B04: 7E2E1717
	v_fma_f32 v24, v20, v22, v24                               // 000000002B08: D1CB0018 04622D14
	v_fma_f32 v24, v21, v23, v24                               // 000000002B10: D1CB0018 04622F15
	ds_write_b32 v16, v24                                      // 000000002B18: D81A0000 00001810
	s_waitcnt lgkmcnt(0)                                       // 000000002B20: BF8CC07F
	s_mov_b64 exec, s[48:49]                                   // 000000002B24: BEFE0130
	ds_read_b128 v[20:23], v18                                 // 000000002B28: D9FE0000 14000012
	s_waitcnt lgkmcnt(0)                                       // 000000002B30: BF8CC07F
	ds_read_b128 v[24:27], v19                                 // 000000002B34: D9FE0000 18000013
	s_waitcnt lgkmcnt(0)                                       // 000000002B3C: BF8CC07F
	v_add_f32_e32 v14, v20, v14                                // 000000002B40: 021C1D14
	v_add_f32_e32 v14, v21, v14                                // 000000002B44: 021C1D15
	v_add_f32_e32 v14, v22, v14                                // 000000002B48: 021C1D16
	v_add_f32_e32 v14, v23, v14                                // 000000002B4C: 021C1D17
	v_add_f32_e32 v14, v24, v14                                // 000000002B50: 021C1D18
	v_add_f32_e32 v14, v25, v14                                // 000000002B54: 021C1D19
	v_add_f32_e32 v14, v26, v14                                // 000000002B58: 021C1D1A
	v_add_f32_e32 v14, v27, v14                                // 000000002B5C: 021C1D1B
	s_mov_b64 exec, -1                                         // 000000002B60: BEFE01C1
	s_mul_i32 s31, s8, 3                                       // 000000002B64: 921F8308
	s_lshl_b32 s31, s31, 3                                     // 000000002B68: 8E1F831F
	v_add_u32_e32 v15, s31, v4                                 // 000000002B6C: 681E081F
	s_mul_i32 s31, s52, 3                                      // 000000002B70: 921F8334
	s_lshl_b32 s31, s31, 3                                     // 000000002B74: 8E1F831F
	v_add_u32_e32 v30, s31, v29                                // 000000002B78: 683C3A1F
	v_and_b32_e32 v28, 7, v0                                   // 000000002B7C: 26380087
	v_cmp_eq_u32_e64 s[48:49], v28, 6                          // 000000002B80: D0CA0030 00010D1C
	v_mov_b32_e32 v10, 0                                       // 000000002B88: 7E140280
	v_mov_b32_e32 v6, 0                                        // 000000002B8C: 7E0C0280
	v_mov_b32_e32 v11, 0                                       // 000000002B90: 7E160280
	v_mov_b32_e32 v7, 0                                        // 000000002B94: 7E0E0280
	v_mov_b32_e32 v12, 0                                       // 000000002B98: 7E180280
	v_mov_b32_e32 v8, 0                                        // 000000002B9C: 7E100280
	v_mov_b32_e32 v13, 0                                       // 000000002BA0: 7E1A0280
	v_mov_b32_e32 v9, 0                                        // 000000002BA4: 7E120280
	s_mov_b64 exec, s[36:37]                                   // 000000002BA8: BEFE0124
	buffer_load_dwordx4 v[10:13], v30, s[20:23], 0 offen       // 000000002BAC: E05C1000 80050A1E
	buffer_load_dwordx4 v[6:9], v15, s[12:15], 0 offen         // 000000002BB4: E05C1000 8003060F
	s_mov_b64 exec, -1                                         // 000000002BBC: BEFE01C1
	v_add_u32_e32 v15, 0x80, v15                               // 000000002BC0: 681E1EFF 00000080
	v_add_u32_e32 v30, 0x80, v30                               // 000000002BC8: 683C3CFF 00000080
	s_waitcnt vmcnt(0) expcnt(0) lgkmcnt(0)                    // 000000002BD0: BF8C0000
	s_barrier                                                  // 000000002BD4: BF8A0000
	v_mov_b32_e32 v24, 0                                       // 000000002BD8: 7E300280
	v_and_b32_e32 v20, 0xffff, v6                              // 000000002BDC: 26280CFF 0000FFFF
	v_lshrrev_b32_e32 v21, 16, v6                              // 000000002BE4: 202A0C90
	v_and_b32_e32 v22, 0xffff, v10                             // 000000002BE8: 262C14FF 0000FFFF
	v_lshrrev_b32_e32 v23, 16, v10                             // 000000002BF0: 202E1490
	v_cvt_f32_f16_e32 v20, v20                                 // 000000002BF4: 7E281714
	v_cvt_f32_f16_e32 v22, v22                                 // 000000002BF8: 7E2C1716
	v_cvt_f32_f16_e32 v21, v21                                 // 000000002BFC: 7E2A1715
	v_cvt_f32_f16_e32 v23, v23                                 // 000000002C00: 7E2E1717
	v_fma_f32 v24, v20, v22, v24                               // 000000002C04: D1CB0018 04622D14
	v_fma_f32 v24, v21, v23, v24                               // 000000002C0C: D1CB0018 04622F15
	v_and_b32_e32 v20, 0xffff, v7                              // 000000002C14: 26280EFF 0000FFFF
	v_lshrrev_b32_e32 v21, 16, v7                              // 000000002C1C: 202A0E90
	v_and_b32_e32 v22, 0xffff, v11                             // 000000002C20: 262C16FF 0000FFFF
	v_lshrrev_b32_e32 v23, 16, v11                             // 000000002C28: 202E1690
	v_cvt_f32_f16_e32 v20, v20                                 // 000000002C2C: 7E281714
	v_cvt_f32_f16_e32 v22, v22                                 // 000000002C30: 7E2C1716
	v_cvt_f32_f16_e32 v21, v21                                 // 000000002C34: 7E2A1715
	v_cvt_f32_f16_e32 v23, v23                                 // 000000002C38: 7E2E1717
	v_fma_f32 v24, v20, v22, v24                               // 000000002C3C: D1CB0018 04622D14
	v_fma_f32 v24, v21, v23, v24                               // 000000002C44: D1CB0018 04622F15
	v_and_b32_e32 v20, 0xffff, v8                              // 000000002C4C: 262810FF 0000FFFF
	v_lshrrev_b32_e32 v21, 16, v8                              // 000000002C54: 202A1090
	v_and_b32_e32 v22, 0xffff, v12                             // 000000002C58: 262C18FF 0000FFFF
	v_lshrrev_b32_e32 v23, 16, v12                             // 000000002C60: 202E1890
	v_cvt_f32_f16_e32 v20, v20                                 // 000000002C64: 7E281714
	v_cvt_f32_f16_e32 v22, v22                                 // 000000002C68: 7E2C1716
	v_cvt_f32_f16_e32 v21, v21                                 // 000000002C6C: 7E2A1715
	v_cvt_f32_f16_e32 v23, v23                                 // 000000002C70: 7E2E1717
	v_fma_f32 v24, v20, v22, v24                               // 000000002C74: D1CB0018 04622D14
	v_fma_f32 v24, v21, v23, v24                               // 000000002C7C: D1CB0018 04622F15
	v_and_b32_e32 v20, 0xffff, v9                              // 000000002C84: 262812FF 0000FFFF
	v_lshrrev_b32_e32 v21, 16, v9                              // 000000002C8C: 202A1290
	v_and_b32_e32 v22, 0xffff, v13                             // 000000002C90: 262C1AFF 0000FFFF
	v_lshrrev_b32_e32 v23, 16, v13                             // 000000002C98: 202E1A90
	v_cvt_f32_f16_e32 v20, v20                                 // 000000002C9C: 7E281714
	v_cvt_f32_f16_e32 v22, v22                                 // 000000002CA0: 7E2C1716
	v_cvt_f32_f16_e32 v21, v21                                 // 000000002CA4: 7E2A1715
	v_cvt_f32_f16_e32 v23, v23                                 // 000000002CA8: 7E2E1717
	v_fma_f32 v24, v20, v22, v24                               // 000000002CAC: D1CB0018 04622D14
	v_fma_f32 v24, v21, v23, v24                               // 000000002CB4: D1CB0018 04622F15
	ds_write_b32 v16, v24                                      // 000000002CBC: D81A0000 00001810
	s_waitcnt lgkmcnt(0)                                       // 000000002CC4: BF8CC07F
	s_mov_b64 exec, s[48:49]                                   // 000000002CC8: BEFE0130
	ds_read_b128 v[20:23], v18                                 // 000000002CCC: D9FE0000 14000012
	s_waitcnt lgkmcnt(0)                                       // 000000002CD4: BF8CC07F
	ds_read_b128 v[24:27], v19                                 // 000000002CD8: D9FE0000 18000013
	s_waitcnt lgkmcnt(0)                                       // 000000002CE0: BF8CC07F
	v_add_f32_e32 v14, v20, v14                                // 000000002CE4: 021C1D14
	v_add_f32_e32 v14, v21, v14                                // 000000002CE8: 021C1D15
	v_add_f32_e32 v14, v22, v14                                // 000000002CEC: 021C1D16
	v_add_f32_e32 v14, v23, v14                                // 000000002CF0: 021C1D17
	v_add_f32_e32 v14, v24, v14                                // 000000002CF4: 021C1D18
	v_add_f32_e32 v14, v25, v14                                // 000000002CF8: 021C1D19
	v_add_f32_e32 v14, v26, v14                                // 000000002CFC: 021C1D1A
	v_add_f32_e32 v14, v27, v14                                // 000000002D00: 021C1D1B
	s_mov_b64 exec, -1                                         // 000000002D04: BEFE01C1
	s_mov_b64 exec, s[38:39]                                   // 000000002D08: BEFE0126
	buffer_store_dword v14, v5, s[16:19], 0 offen              // 000000002D0C: E0701000 80040E05
	s_waitcnt vmcnt(0) expcnt(0) lgkmcnt(0)                    // 000000002D14: BF8C0000
	s_endpgm                                                   // 000000002D18: BF810000
